;; amdgpu-corpus repo=ROCm/rocFFT kind=compiled arch=gfx950 opt=O3
	.text
	.amdgcn_target "amdgcn-amd-amdhsa--gfx950"
	.amdhsa_code_object_version 6
	.protected	fft_rtc_back_len256_factors_8_4_8_wgs_256_tpt_32_sp_ip_CI_sbcc_twdbase5_3step_dirReg_intrinsicReadWrite ; -- Begin function fft_rtc_back_len256_factors_8_4_8_wgs_256_tpt_32_sp_ip_CI_sbcc_twdbase5_3step_dirReg_intrinsicReadWrite
	.globl	fft_rtc_back_len256_factors_8_4_8_wgs_256_tpt_32_sp_ip_CI_sbcc_twdbase5_3step_dirReg_intrinsicReadWrite
	.p2align	8
	.type	fft_rtc_back_len256_factors_8_4_8_wgs_256_tpt_32_sp_ip_CI_sbcc_twdbase5_3step_dirReg_intrinsicReadWrite,@function
fft_rtc_back_len256_factors_8_4_8_wgs_256_tpt_32_sp_ip_CI_sbcc_twdbase5_3step_dirReg_intrinsicReadWrite: ; @fft_rtc_back_len256_factors_8_4_8_wgs_256_tpt_32_sp_ip_CI_sbcc_twdbase5_3step_dirReg_intrinsicReadWrite
; %bb.0:
	s_load_dwordx8 s[4:11], s[0:1], 0x8
	s_movk_i32 s3, 0x60
	v_cmp_gt_u32_e32 vcc, s3, v0
	s_and_saveexec_b64 s[12:13], vcc
	s_cbranch_execz .LBB0_2
; %bb.1:
	v_lshlrev_b32_e32 v1, 3, v0
	s_waitcnt lgkmcnt(0)
	global_load_dwordx2 v[2:3], v1, s[4:5]
	v_add_u32_e32 v1, 0, v1
	s_waitcnt vmcnt(0)
	ds_write_b64 v1, v[2:3] offset:16384
.LBB0_2:
	s_or_b64 exec, exec, s[12:13]
	s_waitcnt lgkmcnt(0)
	s_load_dwordx2 s[18:19], s[8:9], 0x8
	s_mov_b32 s3, 0
	s_mov_b64 s[24:25], 0
	s_waitcnt lgkmcnt(0)
	s_add_u32 s4, s18, -1
	s_addc_u32 s5, s19, -1
	s_lshr_b64 s[4:5], s[4:5], 3
	s_add_u32 s20, s4, 1
	s_addc_u32 s21, s5, 0
	v_mov_b64_e32 v[2:3], s[20:21]
	v_cmp_lt_u64_e32 vcc, s[2:3], v[2:3]
	s_cbranch_vccnz .LBB0_4
; %bb.3:
	v_cvt_f32_u32_e32 v1, s20
	s_sub_i32 s4, 0, s20
	s_mov_b32 s25, s3
	v_rcp_iflag_f32_e32 v1, v1
	s_nop 0
	v_mul_f32_e32 v1, 0x4f7ffffe, v1
	v_cvt_u32_f32_e32 v1, v1
	s_nop 0
	v_readfirstlane_b32 s5, v1
	s_mul_i32 s4, s4, s5
	s_mul_hi_u32 s4, s5, s4
	s_add_i32 s5, s5, s4
	s_mul_hi_u32 s4, s2, s5
	s_mul_i32 s12, s4, s20
	s_sub_i32 s12, s2, s12
	s_add_i32 s5, s4, 1
	s_sub_i32 s13, s12, s20
	s_cmp_ge_u32 s12, s20
	s_cselect_b32 s4, s5, s4
	s_cselect_b32 s12, s13, s12
	s_add_i32 s5, s4, 1
	s_cmp_ge_u32 s12, s20
	s_cselect_b32 s24, s5, s4
.LBB0_4:
	s_load_dwordx2 s[4:5], s[0:1], 0x58
	s_load_dwordx2 s[16:17], s[0:1], 0x0
	s_load_dwordx4 s[12:15], s[10:11], 0x0
	s_mul_i32 s0, s24, s21
	s_mul_hi_u32 s1, s24, s20
	s_add_i32 s1, s1, s0
	s_mul_i32 s0, s24, s20
	s_sub_u32 s0, s2, s0
	s_subb_u32 s1, 0, s1
	v_mov_b32_e32 v1, s0
	s_lshl_b64 s[22:23], s[0:1], 3
	v_alignbit_b32 v1, s1, v1, 29
	s_waitcnt lgkmcnt(0)
	v_mul_lo_u32 v1, s14, v1
	s_mul_hi_u32 s0, s14, s22
	v_add_u32_e32 v1, s0, v1
	s_mul_i32 s0, s15, s22
	v_add_u32_e32 v3, s0, v1
	s_mul_i32 s0, s14, s22
	v_mov_b32_e32 v2, s0
	v_cmp_lt_u64_e64 s[0:1], s[6:7], 3
	s_and_b64 vcc, exec, s[0:1]
	s_cbranch_vccnz .LBB0_13
; %bb.5:
	s_add_u32 s26, s10, 16
	s_addc_u32 s27, s11, 0
	s_add_u32 s8, s8, 16
	s_addc_u32 s9, s9, 0
	s_mov_b64 s[28:29], 2
	s_mov_b32 s30, 0
	v_mov_b64_e32 v[4:5], s[6:7]
	s_branch .LBB0_7
.LBB0_6:                                ;   in Loop: Header=BB0_7 Depth=1
	s_mul_i32 s13, s34, s21
	s_mul_hi_u32 s15, s34, s20
	s_add_i32 s13, s15, s13
	s_mul_i32 s15, s35, s20
	s_add_i32 s21, s13, s15
	s_mul_i32 s13, s0, s35
	s_mul_hi_u32 s15, s0, s34
	s_load_dwordx2 s[36:37], s[26:27], 0x0
	s_add_i32 s13, s15, s13
	s_mul_i32 s15, s1, s34
	s_add_i32 s13, s13, s15
	s_mul_i32 s15, s0, s34
	s_sub_u32 s15, s24, s15
	s_subb_u32 s13, s25, s13
	s_waitcnt lgkmcnt(0)
	s_mul_i32 s13, s36, s13
	s_mul_hi_u32 s24, s36, s15
	s_add_i32 s13, s24, s13
	s_mul_i32 s24, s37, s15
	s_add_i32 s25, s13, s24
	s_add_u32 s28, s28, 1
	s_addc_u32 s29, s29, 0
	s_add_u32 s26, s26, 8
	s_addc_u32 s27, s27, 0
	s_mul_i32 s24, s36, s15
	s_add_u32 s8, s8, 8
	v_cmp_ge_u64_e32 vcc, s[28:29], v[4:5]
	s_mul_i32 s20, s34, s20
	v_lshl_add_u64 v[2:3], s[24:25], 0, v[2:3]
	s_addc_u32 s9, s9, 0
	s_mov_b64 s[24:25], s[0:1]
	s_cbranch_vccnz .LBB0_11
.LBB0_7:                                ; =>This Inner Loop Header: Depth=1
	s_load_dwordx2 s[34:35], s[8:9], 0x0
	s_waitcnt lgkmcnt(0)
	s_or_b64 s[0:1], s[24:25], s[34:35]
	s_mov_b32 s31, s1
	s_cmp_lg_u64 s[30:31], 0
	s_cbranch_scc0 .LBB0_9
; %bb.8:                                ;   in Loop: Header=BB0_7 Depth=1
	v_cvt_f32_u32_e32 v1, s34
	v_cvt_f32_u32_e32 v6, s35
	s_sub_u32 s0, 0, s34
	s_subb_u32 s1, 0, s35
	v_fmac_f32_e32 v1, 0x4f800000, v6
	v_rcp_f32_e32 v1, v1
	s_nop 0
	v_mul_f32_e32 v1, 0x5f7ffffc, v1
	v_mul_f32_e32 v6, 0x2f800000, v1
	v_trunc_f32_e32 v6, v6
	v_fmac_f32_e32 v1, 0xcf800000, v6
	v_cvt_u32_f32_e32 v6, v6
	v_cvt_u32_f32_e32 v1, v1
	v_readfirstlane_b32 s13, v6
	v_readfirstlane_b32 s15, v1
	s_mul_i32 s31, s0, s13
	s_mul_hi_u32 s36, s0, s15
	s_mul_i32 s33, s1, s15
	s_add_i32 s31, s36, s31
	s_mul_i32 s37, s0, s15
	s_add_i32 s31, s31, s33
	s_mul_hi_u32 s33, s15, s31
	s_mul_i32 s36, s15, s31
	s_mul_hi_u32 s15, s15, s37
	s_add_u32 s15, s15, s36
	s_addc_u32 s33, 0, s33
	s_mul_hi_u32 s38, s13, s37
	s_mul_i32 s37, s13, s37
	s_add_u32 s15, s15, s37
	s_mul_hi_u32 s36, s13, s31
	s_addc_u32 s15, s33, s38
	s_addc_u32 s33, s36, 0
	s_mul_i32 s31, s13, s31
	s_add_u32 s15, s15, s31
	s_addc_u32 s31, 0, s33
	v_add_co_u32_e32 v1, vcc, s15, v1
	s_cmp_lg_u64 vcc, 0
	s_addc_u32 s13, s13, s31
	v_readfirstlane_b32 s31, v1
	s_mul_i32 s15, s0, s13
	s_mul_hi_u32 s33, s0, s31
	s_add_i32 s15, s33, s15
	s_mul_i32 s1, s1, s31
	s_add_i32 s15, s15, s1
	s_mul_i32 s0, s0, s31
	s_mul_hi_u32 s33, s13, s0
	s_mul_i32 s36, s13, s0
	s_mul_i32 s38, s31, s15
	s_mul_hi_u32 s0, s31, s0
	s_mul_hi_u32 s37, s31, s15
	s_add_u32 s0, s0, s38
	s_addc_u32 s31, 0, s37
	s_add_u32 s0, s0, s36
	s_mul_hi_u32 s1, s13, s15
	s_addc_u32 s0, s31, s33
	s_addc_u32 s1, s1, 0
	s_mul_i32 s15, s13, s15
	s_add_u32 s0, s0, s15
	s_addc_u32 s1, 0, s1
	v_add_co_u32_e32 v1, vcc, s0, v1
	s_cmp_lg_u64 vcc, 0
	s_addc_u32 s0, s13, s1
	v_readfirstlane_b32 s15, v1
	s_mul_i32 s13, s24, s0
	s_mul_hi_u32 s31, s24, s15
	s_mul_hi_u32 s1, s24, s0
	s_add_u32 s13, s31, s13
	s_addc_u32 s1, 0, s1
	s_mul_hi_u32 s33, s25, s15
	s_mul_i32 s15, s25, s15
	s_add_u32 s13, s13, s15
	s_mul_hi_u32 s31, s25, s0
	s_addc_u32 s1, s1, s33
	s_addc_u32 s13, s31, 0
	s_mul_i32 s0, s25, s0
	s_add_u32 s15, s1, s0
	s_addc_u32 s13, 0, s13
	s_mul_i32 s0, s34, s13
	s_mul_hi_u32 s1, s34, s15
	s_add_i32 s0, s1, s0
	s_mul_i32 s1, s35, s15
	s_add_i32 s31, s0, s1
	s_mul_i32 s1, s34, s15
	v_mov_b32_e32 v1, s1
	s_sub_i32 s0, s25, s31
	v_sub_co_u32_e32 v1, vcc, s24, v1
	s_cmp_lg_u64 vcc, 0
	s_subb_u32 s33, s0, s35
	v_subrev_co_u32_e64 v6, s[0:1], s34, v1
	s_cmp_lg_u64 s[0:1], 0
	s_subb_u32 s0, s33, 0
	s_cmp_ge_u32 s0, s35
	v_readfirstlane_b32 s33, v6
	s_cselect_b32 s1, -1, 0
	s_cmp_ge_u32 s33, s34
	s_cselect_b32 s33, -1, 0
	s_cmp_eq_u32 s0, s35
	s_cselect_b32 s0, s33, s1
	s_add_u32 s1, s15, 1
	s_addc_u32 s33, s13, 0
	s_add_u32 s36, s15, 2
	s_addc_u32 s37, s13, 0
	s_cmp_lg_u32 s0, 0
	s_cselect_b32 s0, s36, s1
	s_cselect_b32 s1, s37, s33
	s_cmp_lg_u64 vcc, 0
	s_subb_u32 s31, s25, s31
	s_cmp_ge_u32 s31, s35
	v_readfirstlane_b32 s36, v1
	s_cselect_b32 s33, -1, 0
	s_cmp_ge_u32 s36, s34
	s_cselect_b32 s36, -1, 0
	s_cmp_eq_u32 s31, s35
	s_cselect_b32 s31, s36, s33
	s_cmp_lg_u32 s31, 0
	s_cselect_b32 s1, s1, s13
	s_cselect_b32 s0, s0, s15
	s_cbranch_execnz .LBB0_6
	s_branch .LBB0_10
.LBB0_9:                                ;   in Loop: Header=BB0_7 Depth=1
                                        ; implicit-def: $sgpr0_sgpr1
.LBB0_10:                               ;   in Loop: Header=BB0_7 Depth=1
	v_cvt_f32_u32_e32 v1, s34
	s_sub_i32 s0, 0, s34
	v_rcp_iflag_f32_e32 v1, v1
	s_nop 0
	v_mul_f32_e32 v1, 0x4f7ffffe, v1
	v_cvt_u32_f32_e32 v1, v1
	s_nop 0
	v_readfirstlane_b32 s1, v1
	s_mul_i32 s0, s0, s1
	s_mul_hi_u32 s0, s1, s0
	s_add_i32 s1, s1, s0
	s_mul_hi_u32 s0, s24, s1
	s_mul_i32 s13, s0, s34
	s_sub_i32 s13, s24, s13
	s_add_i32 s1, s0, 1
	s_sub_i32 s15, s13, s34
	s_cmp_ge_u32 s13, s34
	s_cselect_b32 s0, s1, s0
	s_cselect_b32 s13, s15, s13
	s_add_i32 s1, s0, 1
	s_cmp_ge_u32 s13, s34
	s_cselect_b32 s0, s1, s0
	s_mov_b32 s1, s30
	s_branch .LBB0_6
.LBB0_11:
	v_mov_b64_e32 v[4:5], s[20:21]
	v_cmp_lt_u64_e32 vcc, s[2:3], v[4:5]
	s_mov_b64 s[24:25], 0
	s_cbranch_vccnz .LBB0_13
; %bb.12:
	v_cvt_f32_u32_e32 v1, s20
	s_sub_i32 s0, 0, s20
	v_rcp_iflag_f32_e32 v1, v1
	s_nop 0
	v_mul_f32_e32 v1, 0x4f7ffffe, v1
	v_cvt_u32_f32_e32 v1, v1
	s_nop 0
	v_readfirstlane_b32 s1, v1
	s_mul_i32 s0, s0, s1
	s_mul_hi_u32 s0, s1, s0
	s_add_i32 s1, s1, s0
	s_mul_hi_u32 s0, s2, s1
	s_mul_i32 s3, s0, s20
	s_sub_i32 s2, s2, s3
	s_add_i32 s1, s0, 1
	s_sub_i32 s3, s2, s20
	s_cmp_ge_u32 s2, s20
	s_cselect_b32 s0, s1, s0
	s_cselect_b32 s2, s3, s2
	s_add_i32 s1, s0, 1
	s_cmp_ge_u32 s2, s20
	s_cselect_b32 s24, s1, s0
.LBB0_13:
	s_lshl_b64 s[0:1], s[6:7], 3
	s_add_u32 s0, s10, s0
	s_addc_u32 s1, s11, s1
	s_load_dwordx2 s[0:1], s[0:1], 0x0
	v_and_b32_e32 v24, 7, v0
	v_or_b32_e32 v20, s22, v24
	v_mov_b32_e32 v21, s23
	v_mov_b32_e32 v4, 0
	s_waitcnt lgkmcnt(0)
	s_mul_i32 s1, s1, s24
	s_mul_hi_u32 s2, s0, s24
	s_mul_i32 s0, s0, s24
	s_add_i32 s1, s2, s1
	v_lshl_add_u64 v[16:17], s[0:1], 0, v[2:3]
	s_add_u32 s0, s22, 8
	s_addc_u32 s1, s23, 0
	v_mov_b64_e32 v[2:3], s[18:19]
	v_cmp_le_u64_e32 vcc, s[0:1], v[2:3]
	v_mad_u64_u32 v[18:19], s[0:1], s14, v24, 0
	v_cmp_gt_u64_e64 s[0:1], s[18:19], v[20:21]
	v_lshrrev_b32_e32 v17, 3, v0
	s_or_b64 s[2:3], vcc, s[0:1]
	v_mov_b32_e32 v2, 0
	v_mov_b32_e32 v5, 0
	s_and_saveexec_b64 s[0:1], s[2:3]
	s_cbranch_execz .LBB0_15
; %bb.14:
	v_mul_lo_u32 v1, s12, v17
	v_add3_u32 v4, v16, v18, v1
	v_mov_b32_e32 v5, 0
	v_lshl_add_u64 v[4:5], v[4:5], 3, s[4:5]
	global_load_dwordx2 v[4:5], v[4:5], off
.LBB0_15:
	s_or_b64 exec, exec, s[0:1]
	v_add_u32_e32 v1, 32, v17
	v_mov_b32_e32 v3, 0
	s_and_saveexec_b64 s[0:1], s[2:3]
	s_cbranch_execz .LBB0_17
; %bb.16:
	v_mul_lo_u32 v2, s12, v1
	v_add3_u32 v2, v16, v18, v2
	v_mov_b32_e32 v3, 0
	v_lshl_add_u64 v[2:3], v[2:3], 3, s[4:5]
	global_load_dwordx2 v[2:3], v[2:3], off
.LBB0_17:
	s_or_b64 exec, exec, s[0:1]
	v_mov_b32_e32 v6, 0
	v_mov_b32_e32 v8, 0
	;; [unrolled: 1-line block ×3, first 2 shown]
	s_and_saveexec_b64 s[0:1], s[2:3]
	s_cbranch_execz .LBB0_19
; %bb.18:
	v_add_u32_e32 v7, 64, v17
	v_mul_lo_u32 v7, s12, v7
	v_add3_u32 v8, v16, v18, v7
	v_mov_b32_e32 v9, 0
	v_lshl_add_u64 v[8:9], v[8:9], 3, s[4:5]
	global_load_dwordx2 v[8:9], v[8:9], off
.LBB0_19:
	s_or_b64 exec, exec, s[0:1]
	v_mov_b32_e32 v7, 0
	s_and_saveexec_b64 s[0:1], s[2:3]
	s_cbranch_execz .LBB0_21
; %bb.20:
	v_add_u32_e32 v6, 0x60, v17
	v_mul_lo_u32 v6, s12, v6
	v_add3_u32 v6, v16, v18, v6
	v_mov_b32_e32 v7, 0
	v_lshl_add_u64 v[6:7], v[6:7], 3, s[4:5]
	global_load_dwordx2 v[6:7], v[6:7], off
.LBB0_21:
	s_or_b64 exec, exec, s[0:1]
	v_mov_b32_e32 v10, 0
	v_mov_b32_e32 v12, 0
	;; [unrolled: 1-line block ×3, first 2 shown]
	s_and_saveexec_b64 s[0:1], s[2:3]
	s_cbranch_execz .LBB0_23
; %bb.22:
	v_or_b32_e32 v11, 0x80, v17
	v_mul_lo_u32 v11, s12, v11
	v_add3_u32 v12, v16, v18, v11
	v_mov_b32_e32 v13, 0
	v_lshl_add_u64 v[12:13], v[12:13], 3, s[4:5]
	global_load_dwordx2 v[12:13], v[12:13], off
.LBB0_23:
	s_or_b64 exec, exec, s[0:1]
	v_mov_b32_e32 v11, 0
	s_and_saveexec_b64 s[0:1], s[2:3]
	s_cbranch_execz .LBB0_25
; %bb.24:
	v_add_u32_e32 v10, 0xa0, v17
	v_mul_lo_u32 v10, s12, v10
	v_add3_u32 v10, v16, v18, v10
	v_mov_b32_e32 v11, 0
	v_lshl_add_u64 v[10:11], v[10:11], 3, s[4:5]
	global_load_dwordx2 v[10:11], v[10:11], off
.LBB0_25:
	s_or_b64 exec, exec, s[0:1]
	v_mov_b32_e32 v14, 0
	v_mov_b32_e32 v22, 0
	;; [unrolled: 1-line block ×3, first 2 shown]
	s_and_saveexec_b64 s[0:1], s[2:3]
	s_cbranch_execz .LBB0_27
; %bb.26:
	v_add_u32_e32 v15, 0xc0, v17
	v_mul_lo_u32 v15, s12, v15
	v_add3_u32 v22, v16, v18, v15
	v_mov_b32_e32 v23, 0
	v_lshl_add_u64 v[22:23], v[22:23], 3, s[4:5]
	global_load_dwordx2 v[22:23], v[22:23], off
.LBB0_27:
	s_or_b64 exec, exec, s[0:1]
	v_mov_b32_e32 v15, 0
	s_and_saveexec_b64 s[0:1], s[2:3]
	s_cbranch_execz .LBB0_29
; %bb.28:
	v_add_u32_e32 v14, 0xe0, v17
	v_mul_lo_u32 v14, s12, v14
	v_add3_u32 v14, v16, v18, v14
	v_mov_b32_e32 v15, 0
	v_lshl_add_u64 v[14:15], v[14:15], 3, s[4:5]
	global_load_dwordx2 v[14:15], v[14:15], off
.LBB0_29:
	s_or_b64 exec, exec, s[0:1]
	s_waitcnt vmcnt(0)
	v_pk_add_f32 v[12:13], v[4:5], v[12:13] neg_lo:[0,1] neg_hi:[0,1]
	v_pk_add_f32 v[22:23], v[8:9], v[22:23] neg_lo:[0,1] neg_hi:[0,1]
	;; [unrolled: 1-line block ×4, first 2 shown]
	v_lshlrev_b32_e32 v21, 3, v24
	v_pk_fma_f32 v[8:9], v[8:9], 2.0, v[22:23] op_sel_hi:[1,0,1] neg_lo:[0,0,1] neg_hi:[0,0,1]
	v_pk_add_f32 v[24:25], v[12:13], v[22:23] op_sel:[0,1] op_sel_hi:[1,0]
	v_pk_add_f32 v[22:23], v[12:13], v[22:23] op_sel:[0,1] op_sel_hi:[1,0] neg_lo:[0,1] neg_hi:[0,1]
	v_pk_fma_f32 v[6:7], v[6:7], 2.0, v[14:15] op_sel_hi:[1,0,1] neg_lo:[0,0,1] neg_hi:[0,0,1]
	v_mov_b32_e32 v25, v23
	v_pk_add_f32 v[22:23], v[10:11], v[14:15] op_sel:[0,1] op_sel_hi:[1,0]
	v_pk_add_f32 v[14:15], v[10:11], v[14:15] op_sel:[0,1] op_sel_hi:[1,0] neg_lo:[0,1] neg_hi:[0,1]
	v_pk_fma_f32 v[4:5], v[4:5], 2.0, v[12:13] op_sel_hi:[1,0,1] neg_lo:[0,0,1] neg_hi:[0,0,1]
	v_mov_b32_e32 v23, v15
	v_pk_fma_f32 v[2:3], v[2:3], 2.0, v[10:11] op_sel_hi:[1,0,1] neg_lo:[0,0,1] neg_hi:[0,0,1]
	v_pk_fma_f32 v[12:13], v[12:13], 2.0, v[24:25] op_sel_hi:[1,0,1] neg_lo:[0,0,1] neg_hi:[0,0,1]
	;; [unrolled: 1-line block ×3, first 2 shown]
	s_mov_b32 s0, 0x3f3504f3
	v_pk_add_f32 v[8:9], v[4:5], v[8:9] neg_lo:[0,1] neg_hi:[0,1]
	v_pk_add_f32 v[6:7], v[2:3], v[6:7] neg_lo:[0,1] neg_hi:[0,1]
	v_pk_mul_f32 v[14:15], v[10:11], s[0:1] op_sel_hi:[1,0]
	v_pk_fma_f32 v[10:11], v[10:11], s[0:1], v[12:13] op_sel_hi:[1,0,1] neg_lo:[1,0,0] neg_hi:[1,0,0]
	v_pk_fma_f32 v[4:5], v[4:5], 2.0, v[8:9] op_sel_hi:[1,0,1] neg_lo:[0,0,1] neg_hi:[0,0,1]
	v_pk_fma_f32 v[2:3], v[2:3], 2.0, v[6:7] op_sel_hi:[1,0,1] neg_lo:[0,0,1] neg_hi:[0,0,1]
	v_pk_add_f32 v[26:27], v[10:11], v[14:15] op_sel:[0,1] op_sel_hi:[1,0]
	v_pk_add_f32 v[10:11], v[10:11], v[14:15] op_sel:[0,1] op_sel_hi:[1,0] neg_lo:[0,1] neg_hi:[0,1]
	v_lshlrev_b32_e32 v19, 9, v17
	v_pk_add_f32 v[2:3], v[4:5], v[2:3] neg_lo:[0,1] neg_hi:[0,1]
	v_mov_b32_e32 v27, v11
	v_add3_u32 v19, 0, v19, v21
	v_pk_fma_f32 v[4:5], v[4:5], 2.0, v[2:3] op_sel_hi:[1,0,1] neg_lo:[0,0,1] neg_hi:[0,0,1]
	v_pk_fma_f32 v[10:11], v[12:13], 2.0, v[26:27] op_sel_hi:[1,0,1] neg_lo:[0,0,1] neg_hi:[0,0,1]
	ds_write2_b64 v19, v[4:5], v[10:11] offset1:8
	v_pk_add_f32 v[4:5], v[8:9], v[6:7] op_sel:[0,1] op_sel_hi:[1,0]
	v_pk_add_f32 v[6:7], v[8:9], v[6:7] op_sel:[0,1] op_sel_hi:[1,0] neg_lo:[0,1] neg_hi:[0,1]
	v_pk_fma_f32 v[10:11], v[22:23], s[0:1], v[24:25] op_sel_hi:[1,0,1]
	v_mov_b32_e32 v5, v7
	v_pk_fma_f32 v[6:7], v[8:9], 2.0, v[4:5] op_sel_hi:[1,0,1] neg_lo:[0,0,1] neg_hi:[0,0,1]
	v_pk_mul_f32 v[8:9], v[22:23], s[0:1] op_sel_hi:[1,0]
	v_bfe_u32 v0, v0, 3, 3
	v_pk_add_f32 v[12:13], v[10:11], v[8:9] op_sel:[0,1] op_sel_hi:[1,0]
	v_pk_add_f32 v[8:9], v[10:11], v[8:9] op_sel:[0,1] op_sel_hi:[1,0] neg_lo:[0,1] neg_hi:[0,1]
	s_movk_i32 s6, 0x1e0
	v_mov_b32_e32 v13, v9
	v_pk_fma_f32 v[8:9], v[24:25], 2.0, v[12:13] op_sel_hi:[1,0,1] neg_lo:[0,0,1] neg_hi:[0,0,1]
	ds_write2_b64 v19, v[6:7], v[8:9] offset0:16 offset1:24
	ds_write2_b64 v19, v[2:3], v[26:27] offset0:32 offset1:40
	;; [unrolled: 1-line block ×3, first 2 shown]
	v_mul_u32_u24_e32 v2, 3, v0
	v_lshlrev_b32_e32 v6, 3, v2
	s_waitcnt lgkmcnt(0)
	s_barrier
	global_load_dwordx4 v[2:5], v6, s[16:17]
	global_load_dwordx2 v[14:15], v6, s[16:17] offset:16
	v_lshlrev_b32_e32 v6, 6, v1
	v_lshlrev_b32_e32 v7, 2, v17
	s_movk_i32 s1, 0xfe40
	v_lshlrev_b32_e32 v1, 2, v1
	s_movk_i32 s7, 0x3e0
	v_add3_u32 v23, 0, v6, v21
	v_and_or_b32 v6, v7, s6, v0
	v_and_or_b32 v0, v1, s7, v0
	v_mad_i32_i24 v22, v17, s1, v19
	v_lshlrev_b32_e32 v1, 6, v6
	v_lshlrev_b32_e32 v19, 6, v0
	v_add3_u32 v40, 0, v1, v21
	ds_read2st64_b64 v[6:9], v22 offset0:12 offset1:16
	ds_read2st64_b64 v[10:13], v22 offset0:20 offset1:24
	ds_read_b64 v[0:1], v23
	ds_read_b64 v[28:29], v22 offset:14336
	ds_read2st64_b64 v[24:27], v22 offset1:8
	s_waitcnt lgkmcnt(0)
	s_barrier
	v_add3_u32 v19, 0, v19, v21
	s_waitcnt vmcnt(1)
	v_pk_mul_f32 v[30:31], v[2:3], v[6:7] op_sel:[0,1]
	v_pk_mul_f32 v[32:33], v[4:5], v[10:11] op_sel:[0,1]
	s_waitcnt vmcnt(0)
	v_pk_mul_f32 v[34:35], v[14:15], v[28:29] op_sel:[0,1]
	v_pk_mul_f32 v[36:37], v[2:3], v[26:27] op_sel:[0,1]
	v_pk_fma_f32 v[38:39], v[2:3], v[6:7], v[30:31] op_sel:[0,0,1] op_sel_hi:[1,1,0]
	v_pk_fma_f32 v[6:7], v[2:3], v[6:7], v[30:31] op_sel:[0,0,1] op_sel_hi:[1,0,0] neg_lo:[1,0,0] neg_hi:[1,0,0]
	v_pk_fma_f32 v[30:31], v[4:5], v[10:11], v[32:33] op_sel:[0,0,1] op_sel_hi:[1,1,0]
	v_pk_fma_f32 v[10:11], v[4:5], v[10:11], v[32:33] op_sel:[0,0,1] op_sel_hi:[1,0,0] neg_lo:[1,0,0] neg_hi:[1,0,0]
	;; [unrolled: 2-line block ×4, first 2 shown]
	v_pk_mul_f32 v[26:27], v[4:5], v[8:9] op_sel:[0,1]
	v_mov_b32_e32 v33, v29
	v_pk_fma_f32 v[28:29], v[4:5], v[8:9], v[26:27] op_sel:[0,0,1] op_sel_hi:[1,1,0]
	v_pk_fma_f32 v[4:5], v[4:5], v[8:9], v[26:27] op_sel:[0,0,1] op_sel_hi:[1,0,0] neg_lo:[1,0,0] neg_hi:[1,0,0]
	v_mov_b32_e32 v35, v3
	v_mov_b32_e32 v29, v5
	v_pk_mul_f32 v[4:5], v[14:15], v[12:13] op_sel:[0,1]
	v_mov_b32_e32 v39, v7
	v_pk_fma_f32 v[8:9], v[14:15], v[12:13], v[4:5] op_sel:[0,0,1] op_sel_hi:[1,1,0]
	v_pk_fma_f32 v[4:5], v[14:15], v[12:13], v[4:5] op_sel:[0,0,1] op_sel_hi:[1,0,0] neg_lo:[1,0,0] neg_hi:[1,0,0]
	v_mov_b32_e32 v31, v11
	v_mov_b32_e32 v9, v5
	v_pk_add_f32 v[4:5], v[24:25], v[28:29] neg_lo:[0,1] neg_hi:[0,1]
	v_pk_add_f32 v[8:9], v[34:35], v[8:9] neg_lo:[0,1] neg_hi:[0,1]
	v_pk_fma_f32 v[12:13], v[24:25], 2.0, v[4:5] op_sel_hi:[1,0,1] neg_lo:[0,0,1] neg_hi:[0,0,1]
	v_pk_fma_f32 v[14:15], v[34:35], 2.0, v[8:9] op_sel_hi:[1,0,1] neg_lo:[0,0,1] neg_hi:[0,0,1]
	v_pk_add_f32 v[24:25], v[4:5], v[8:9] op_sel:[0,1] op_sel_hi:[1,0]
	v_pk_add_f32 v[8:9], v[4:5], v[8:9] op_sel:[0,1] op_sel_hi:[1,0] neg_lo:[0,1] neg_hi:[0,1]
	v_pk_add_f32 v[14:15], v[12:13], v[14:15] neg_lo:[0,1] neg_hi:[0,1]
	v_mov_b32_e32 v25, v9
	v_pk_add_f32 v[2:3], v[0:1], v[30:31] neg_lo:[0,1] neg_hi:[0,1]
	v_pk_add_f32 v[6:7], v[38:39], v[32:33] neg_lo:[0,1] neg_hi:[0,1]
	v_pk_fma_f32 v[12:13], v[12:13], 2.0, v[14:15] op_sel_hi:[1,0,1] neg_lo:[0,0,1] neg_hi:[0,0,1]
	v_pk_fma_f32 v[4:5], v[4:5], 2.0, v[24:25] op_sel_hi:[1,0,1] neg_lo:[0,0,1] neg_hi:[0,0,1]
	;; [unrolled: 1-line block ×4, first 2 shown]
	ds_write2st64_b64 v40, v[12:13], v[4:5] offset1:1
	ds_write2st64_b64 v40, v[14:15], v[24:25] offset0:2 offset1:3
	v_pk_add_f32 v[4:5], v[2:3], v[6:7] op_sel:[0,1] op_sel_hi:[1,0]
	v_pk_add_f32 v[6:7], v[2:3], v[6:7] op_sel:[0,1] op_sel_hi:[1,0] neg_lo:[0,1] neg_hi:[0,1]
	v_pk_add_f32 v[10:11], v[0:1], v[10:11] neg_lo:[0,1] neg_hi:[0,1]
	v_mov_b32_e32 v5, v7
	v_pk_fma_f32 v[0:1], v[0:1], 2.0, v[10:11] op_sel_hi:[1,0,1] neg_lo:[0,0,1] neg_hi:[0,0,1]
	v_pk_fma_f32 v[2:3], v[2:3], 2.0, v[4:5] op_sel_hi:[1,0,1] neg_lo:[0,0,1] neg_hi:[0,0,1]
	ds_write2st64_b64 v19, v[0:1], v[2:3] offset1:1
	ds_write2st64_b64 v19, v[10:11], v[4:5] offset0:2 offset1:3
	s_waitcnt lgkmcnt(0)
	s_barrier
	s_and_saveexec_b64 s[6:7], s[2:3]
	s_cbranch_execz .LBB0_31
; %bb.30:
	v_mul_u32_u24_e32 v0, 7, v17
	v_lshlrev_b32_e32 v48, 3, v0
	global_load_dwordx4 v[8:11], v48, s[16:17] offset:224
	global_load_dwordx4 v[0:3], v48, s[16:17] offset:208
	ds_read2st64_b64 v[4:7], v22 offset0:12 offset1:16
	ds_read2st64_b64 v[12:15], v22 offset0:20 offset1:24
	global_load_dwordx4 v[24:27], v48, s[16:17] offset:192
	v_or_b32_e32 v19, 0xe0, v17
	v_or_b32_e32 v21, 0xc0, v17
	v_lshlrev_b32_e32 v40, 5, v20
	v_or_b32_e32 v50, 0x60, v17
	v_mul_lo_u32 v51, v19, v20
	v_mul_lo_u32 v52, v21, v20
	;; [unrolled: 1-line block ×3, first 2 shown]
	v_lshrrev_b32_e32 v30, 2, v51
	v_lshrrev_b32_e32 v31, 7, v52
	v_sub_u32_e32 v54, v52, v40
	s_add_i32 s1, 0, 0x4000
	v_and_b32_e32 v29, 31, v51
	v_and_b32_e32 v32, 31, v53
	v_lshrrev_b32_e32 v33, 2, v53
	v_and_b32_e32 v30, 0xf8, v30
	v_and_b32_e32 v31, 0xf8, v31
	;; [unrolled: 1-line block ×3, first 2 shown]
	v_lshrrev_b32_e32 v35, 2, v54
	v_sub_u32_e32 v55, v54, v40
	v_lshlrev_b32_e32 v28, 6, v20
	v_lshl_add_u32 v29, v29, 3, 0
	v_lshl_add_u32 v42, v32, 3, 0
	v_and_b32_e32 v32, 0xf8, v33
	v_add_u32_e32 v30, s1, v30
	v_add_u32_e32 v33, s1, v31
	v_lshl_add_u32 v34, v34, 3, 0
	v_and_b32_e32 v35, 0xf8, v35
	v_lshrrev_b32_e32 v36, 7, v55
	v_and_b32_e32 v37, 31, v55
	v_add_u32_e32 v43, s1, v32
	v_sub_u32_e32 v56, v55, v28
	ds_read_b64 v[28:29], v29 offset:16384
	ds_read_b64 v[30:31], v30 offset:256
	;; [unrolled: 1-line block ×3, first 2 shown]
	v_add_u32_e32 v41, s1, v35
	v_add_u32_e32 v44, 0x4000, v34
	v_and_b32_e32 v45, 0xf8, v36
	v_lshl_add_u32 v46, v37, 3, 0
	s_waitcnt vmcnt(2) lgkmcnt(3)
	v_pk_mul_f32 v[34:35], v[10:11], v[14:15] op_sel:[0,1]
	v_pk_mul_f32 v[36:37], v[8:9], v[12:13] op_sel:[0,1]
	v_pk_fma_f32 v[38:39], v[10:11], v[14:15], v[34:35] op_sel:[0,0,1] op_sel_hi:[1,1,0]
	v_pk_fma_f32 v[10:11], v[10:11], v[14:15], v[34:35] op_sel:[0,0,1] op_sel_hi:[1,0,0] neg_lo:[1,0,0] neg_hi:[1,0,0]
	v_pk_fma_f32 v[14:15], v[8:9], v[12:13], v[36:37] op_sel:[0,0,1] op_sel_hi:[1,1,0]
	v_pk_fma_f32 v[8:9], v[8:9], v[12:13], v[36:37] op_sel:[0,0,1] op_sel_hi:[1,0,0] neg_lo:[1,0,0] neg_hi:[1,0,0]
	s_waitcnt vmcnt(1)
	v_pk_mul_f32 v[12:13], v[2:3], v[6:7] op_sel:[0,1]
	v_pk_mul_f32 v[34:35], v[0:1], v[4:5] op_sel:[0,1]
	v_pk_fma_f32 v[36:37], v[2:3], v[6:7], v[12:13] op_sel:[0,0,1] op_sel_hi:[1,1,0]
	v_pk_fma_f32 v[6:7], v[2:3], v[6:7], v[12:13] op_sel:[0,0,1] op_sel_hi:[1,0,0] neg_lo:[1,0,0] neg_hi:[1,0,0]
	v_pk_fma_f32 v[12:13], v[0:1], v[4:5], v[34:35] op_sel:[0,0,1] op_sel_hi:[1,1,0]
	v_pk_fma_f32 v[4:5], v[0:1], v[4:5], v[34:35] op_sel:[0,0,1] op_sel_hi:[1,0,0] neg_lo:[1,0,0] neg_hi:[1,0,0]
	v_and_b32_e32 v2, 31, v56
	v_lshrrev_b32_e32 v3, 2, v56
	v_add_u32_e32 v4, s1, v45
	v_sub_u32_e32 v6, v56, v40
	ds_read2_b32 v[0:1], v44 offset1:1
	v_lshl_add_u32 v8, v2, 3, 0
	v_and_b32_e32 v10, 0xf8, v3
	ds_read_b64 v[2:3], v41 offset:256
	ds_read_b64 v[34:35], v4 offset:512
	;; [unrolled: 1-line block ×3, first 2 shown]
	s_waitcnt lgkmcnt(5)
	v_mul_f32_e32 v4, v29, v31
	v_mul_f32_e32 v13, v28, v31
	v_fma_f32 v4, v28, v30, -v4
	v_fmac_f32_e32 v13, v29, v30
	ds_read_b64 v[28:29], v42 offset:16384
	ds_read_b64 v[30:31], v43 offset:256
	s_waitcnt lgkmcnt(4)
	v_mul_f32_e32 v15, v1, v3
	v_mul_f32_e32 v37, v0, v3
	v_fma_f32 v15, v0, v2, -v15
	v_fmac_f32_e32 v37, v1, v2
	s_waitcnt lgkmcnt(0)
	v_mul_f32_e32 v2, v29, v31
	v_fma_f32 v39, v28, v30, -v2
	v_lshrrev_b32_e32 v2, 7, v6
	v_add_u32_e32 v10, s1, v10
	v_add_u32_e32 v8, 0x4000, v8
	v_and_b32_e32 v2, 0xf8, v2
	ds_read2_b32 v[0:1], v8 offset1:1
	v_mul_f32_e32 v8, v28, v31
	v_add_u32_e32 v28, s1, v2
	ds_read_b64 v[2:3], v10 offset:256
	v_and_b32_e32 v10, 31, v6
	v_lshl_add_u32 v10, v10, 3, 0
	v_fmac_f32_e32 v8, v29, v30
	ds_read_b64 v[28:29], v28 offset:512
	ds_read_b64 v[30:31], v10 offset:16384
	s_waitcnt lgkmcnt(2)
	v_mul_f32_e32 v10, v1, v3
	v_mul_f32_e32 v57, v0, v3
	v_fma_f32 v10, v0, v2, -v10
	v_fmac_f32_e32 v57, v1, v2
	ds_read_b64 v[0:1], v23
	ds_read_b64 v[42:43], v22 offset:14336
	v_lshrrev_b32_e32 v6, 2, v6
	v_and_b32_e32 v6, 0xf8, v6
	v_add_u32_e32 v6, s1, v6
	s_waitcnt vmcnt(0) lgkmcnt(1)
	v_pk_mul_f32 v[2:3], v[24:25], v[0:1] op_sel:[0,1]
	s_nop 0
	v_pk_fma_f32 v[44:45], v[24:25], v[0:1], v[2:3] op_sel:[0,0,1] op_sel_hi:[1,1,0]
	v_pk_fma_f32 v[24:25], v[24:25], v[0:1], v[2:3] op_sel:[0,0,1] op_sel_hi:[1,0,0] neg_lo:[1,0,0] neg_hi:[1,0,0]
	ds_read2st64_b64 v[0:3], v22 offset1:8
	v_mov_b32_e32 v45, v25
	s_waitcnt lgkmcnt(0)
	v_pk_mul_f32 v[22:23], v[26:27], v[2:3] op_sel:[0,1]
	s_nop 0
	v_pk_fma_f32 v[46:47], v[26:27], v[2:3], v[22:23] op_sel:[0,0,1] op_sel_hi:[1,1,0]
	v_pk_fma_f32 v[2:3], v[26:27], v[2:3], v[22:23] op_sel:[0,0,1] op_sel_hi:[1,0,0] neg_lo:[1,0,0] neg_hi:[1,0,0]
	global_load_dwordx2 v[22:23], v48, s[16:17] offset:240
	v_lshrrev_b32_e32 v2, 7, v51
	v_and_b32_e32 v2, 0xf8, v2
	v_add_u32_e32 v2, s1, v2
	v_mov_b32_e32 v47, v3
	v_or_b32_e32 v3, 32, v17
	s_waitcnt vmcnt(0)
	v_pk_mul_f32 v[26:27], v[42:43], v[22:23] op_sel:[0,1]
	s_nop 0
	v_pk_fma_f32 v[48:49], v[42:43], v[22:23], v[26:27] op_sel:[0,0,1] op_sel_hi:[1,1,0]
	v_pk_fma_f32 v[22:23], v[42:43], v[22:23], v[26:27] op_sel:[0,0,1] op_sel_hi:[1,0,0] neg_lo:[0,0,1] neg_hi:[0,0,1]
	ds_read_b64 v[26:27], v2 offset:512
	v_mov_b32_e32 v49, v23
	s_waitcnt lgkmcnt(0)
	v_mul_f32_e32 v2, v13, v27
	v_fma_f32 v51, v26, v4, -v2
	v_mul_f32_e32 v58, v4, v27
	v_mul_lo_u32 v2, v17, v20
	v_fmac_f32_e32 v58, v26, v13
	v_and_b32_e32 v4, 31, v52
	v_lshrrev_b32_e32 v13, 2, v52
	v_and_b32_e32 v20, 31, v2
	v_lshl_add_u32 v4, v4, 3, 0
	v_and_b32_e32 v13, 0xf8, v13
	v_lshl_add_u32 v20, v20, 3, 0
	ds_read_b32 v4, v4 offset:16384
	v_add_u32_e32 v13, s1, v13
	ds_read_b32 v22, v20 offset:16388
	ds_read_b64 v[26:27], v13 offset:256
	ds_read_b64 v[42:43], v20 offset:16384
	s_waitcnt lgkmcnt(0)
	v_mul_f32_e32 v13, v43, v27
	v_fma_f32 v13, v4, v26, -v13
	v_mul_f32_e32 v4, v4, v27
	v_fmac_f32_e32 v4, v43, v26
	v_mul_f32_e32 v52, v13, v33
	v_mul_f32_e32 v20, v4, v33
	v_fmac_f32_e32 v52, v32, v4
	v_lshrrev_b32_e32 v4, 7, v54
	v_and_b32_e32 v4, 0xf8, v4
	v_add_u32_e32 v4, s1, v4
	ds_read_b64 v[26:27], v4 offset:512
	v_fma_f32 v20, v32, v13, -v20
	v_mov_b32_e32 v13, v5
	s_waitcnt lgkmcnt(0)
	v_mul_f32_e32 v4, v37, v27
	v_fma_f32 v54, v26, v15, -v4
	v_lshrrev_b32_e32 v4, 7, v53
	v_and_b32_e32 v4, 0xf8, v4
	v_mul_f32_e32 v59, v15, v27
	v_add_u32_e32 v4, s1, v4
	v_fmac_f32_e32 v59, v26, v37
	ds_read_b64 v[26:27], v4 offset:512
	v_mov_b32_e32 v37, v7
	v_mov_b32_e32 v15, v9
	v_pk_add_f32 v[36:37], v[0:1], v[36:37] neg_lo:[0,1] neg_hi:[0,1]
	v_pk_add_f32 v[14:15], v[44:45], v[14:15] neg_lo:[0,1] neg_hi:[0,1]
	s_waitcnt lgkmcnt(0)
	v_mul_f32_e32 v4, v8, v27
	v_fma_f32 v53, v26, v39, -v4
	v_lshrrev_b32_e32 v4, 7, v56
	v_and_b32_e32 v4, 0xf8, v4
	v_mul_f32_e32 v60, v39, v27
	v_add_u32_e32 v4, s1, v4
	v_fmac_f32_e32 v60, v26, v8
	ds_read_b64 v[26:27], v4 offset:512
	v_mov_b32_e32 v39, v11
	v_pk_add_f32 v[38:39], v[46:47], v[38:39] neg_lo:[0,1] neg_hi:[0,1]
	v_pk_fma_f32 v[0:1], v[0:1], 2.0, v[36:37] op_sel_hi:[1,0,1] neg_lo:[0,0,1] neg_hi:[0,0,1]
	s_waitcnt lgkmcnt(0)
	v_mul_f32_e32 v4, v57, v27
	v_fma_f32 v56, v26, v10, -v4
	v_lshrrev_b32_e32 v4, 2, v2
	v_and_b32_e32 v4, 0xf8, v4
	v_mul_f32_e32 v61, v10, v27
	v_add_u32_e32 v4, s1, v4
	v_fmac_f32_e32 v61, v26, v57
	ds_read_b64 v[26:27], v4 offset:256
	v_lshrrev_b32_e32 v2, 7, v2
	v_and_b32_e32 v2, 0xf8, v2
	v_add_u32_e32 v2, s1, v2
	s_waitcnt lgkmcnt(0)
	v_mul_f32_e32 v4, v22, v27
	v_mul_f32_e32 v8, v42, v27
	v_fma_f32 v4, v42, v26, -v4
	v_fmac_f32_e32 v8, v26, v22
	ds_read_b64 v[26:27], v2 offset:512
	v_pk_add_f32 v[22:23], v[12:13], v[48:49] neg_lo:[0,1] neg_hi:[0,1]
	v_pk_fma_f32 v[42:43], v[44:45], 2.0, v[14:15] op_sel_hi:[1,0,1] neg_lo:[0,0,1] neg_hi:[0,0,1]
	v_pk_fma_f32 v[12:13], v[12:13], 2.0, v[22:23] op_sel_hi:[1,0,1] neg_lo:[0,0,1] neg_hi:[0,0,1]
	s_waitcnt lgkmcnt(0)
	v_mul_f32_e32 v2, v27, v8
	v_fma_f32 v57, v26, v4, -v2
	v_lshrrev_b32_e32 v2, 2, v55
	v_and_b32_e32 v2, 0xf8, v2
	v_mul_f32_e32 v62, v27, v4
	v_add_u32_e32 v2, s1, v2
	v_fmac_f32_e32 v62, v26, v8
	ds_read_b64 v[26:27], v2 offset:256
	v_pk_add_f32 v[12:13], v[42:43], v[12:13] neg_lo:[0,1] neg_hi:[0,1]
	s_waitcnt lgkmcnt(0)
	v_mul_f32_e32 v2, v40, v26
	v_fma_f32 v4, -v41, v27, v2
	v_pk_mul_f32 v[26:27], v[40:41], v[26:27] op_sel:[1,0] op_sel_hi:[0,1]
	v_add_f32_e32 v8, v26, v27
	ds_read_b64 v[26:27], v6 offset:256
	v_mul_f32_e32 v2, v4, v35
	v_fmac_f32_e32 v2, v34, v8
	v_mul_f32_e32 v8, v8, v35
	v_fma_f32 v4, v34, v4, -v8
	s_waitcnt lgkmcnt(0)
	v_mul_f32_e32 v6, v30, v26
	v_fma_f32 v8, -v31, v27, v6
	v_pk_mul_f32 v[26:27], v[30:31], v[26:27] op_sel:[1,0] op_sel_hi:[0,1]
	v_add_f32_e32 v10, v26, v27
	v_mul_f32_e32 v6, v8, v29
	v_fmac_f32_e32 v6, v28, v10
	v_mul_f32_e32 v10, v10, v29
	v_fma_f32 v8, v28, v8, -v10
	v_add_u32_e32 v10, v16, v18
	v_pk_fma_f32 v[40:41], v[46:47], 2.0, v[38:39] op_sel_hi:[1,0,1] neg_lo:[0,0,1] neg_hi:[0,0,1]
	v_mad_u64_u32 v[30:31], s[2:3], s12, v3, v[10:11]
	v_or_b32_e32 v3, 64, v17
	v_pk_add_f32 v[40:41], v[0:1], v[40:41] neg_lo:[0,1] neg_hi:[0,1]
	v_mad_u64_u32 v[32:33], s[2:3], s12, v3, v[10:11]
	v_or_b32_e32 v3, 0x80, v17
	v_sub_f32_e32 v5, v41, v12
	v_add_f32_e32 v7, v40, v13
	v_pk_fma_f32 v[0:1], v[0:1], 2.0, v[40:41] op_sel_hi:[1,0,1] neg_lo:[0,0,1] neg_hi:[0,0,1]
	v_pk_fma_f32 v[12:13], v[42:43], 2.0, v[12:13] op_sel_hi:[1,0,1] neg_lo:[0,0,1] neg_hi:[0,0,1]
	v_mad_u64_u32 v[34:35], s[2:3], s12, v3, v[10:11]
	v_mul_f32_e32 v3, v7, v52
	v_pk_add_f32 v[12:13], v[0:1], v[12:13] neg_lo:[0,1] neg_hi:[0,1]
	v_fma_f32 v45, v5, v20, -v3
	v_mul_f32_e32 v44, v5, v52
	v_pk_mul_f32 v[2:3], v[12:13], v[2:3] op_sel_hi:[1,0]
	v_fmac_f32_e32 v44, v7, v20
	v_pk_fma_f32 v[42:43], v[12:13], v[4:5], v[2:3] op_sel:[0,0,1] op_sel_hi:[1,1,0]
	v_pk_fma_f32 v[2:3], v[12:13], v[4:5], v[2:3] op_sel:[0,0,1] op_sel_hi:[1,0,0] neg_lo:[0,0,1] neg_hi:[0,0,1]
	v_fma_f32 v7, v40, 2.0, -v7
	v_fma_f32 v2, v41, 2.0, -v5
	v_mul_f32_e32 v4, v7, v61
	v_fma_f32 v5, v2, v56, -v4
	v_mul_f32_e32 v4, v2, v61
	v_fmac_f32_e32 v4, v7, v56
	v_fma_f32 v7, v0, 2.0, -v12
	v_mad_u64_u32 v[26:27], s[2:3], s12, v17, v[10:11]
	v_fma_f32 v2, v1, 2.0, -v13
	v_mul_f32_e32 v0, v7, v62
	v_mov_b32_e32 v27, 0
	v_fma_f32 v1, v2, v57, -v0
	v_mul_f32_e32 v0, v2, v62
	v_lshl_add_u64 v[28:29], v[26:27], 3, s[4:5]
	v_fmac_f32_e32 v0, v7, v57
	global_store_dwordx2 v[28:29], v[0:1], off
	v_pk_add_f32 v[0:1], v[14:15], v[22:23] op_sel:[0,1] op_sel_hi:[1,0]
	v_pk_add_f32 v[12:13], v[14:15], v[22:23] op_sel:[0,1] op_sel_hi:[1,0] neg_lo:[0,1] neg_hi:[0,1]
	v_pk_add_f32 v[22:23], v[36:37], v[38:39] op_sel:[0,1] op_sel_hi:[1,0]
	v_pk_add_f32 v[28:29], v[36:37], v[38:39] op_sel:[0,1] op_sel_hi:[1,0] neg_lo:[0,1] neg_hi:[0,1]
	v_mov_b32_e32 v1, v13
	v_mov_b32_e32 v23, v29
	v_fmamk_f32 v2, v13, 0x3f3504f3, v29
	v_fmamk_f32 v2, v0, 0xbf3504f3, v2
	;; [unrolled: 1-line block ×3, first 2 shown]
	v_pk_fma_f32 v[0:1], v[14:15], 2.0, v[0:1] op_sel_hi:[1,0,1] neg_lo:[0,0,1] neg_hi:[0,0,1]
	v_pk_fma_f32 v[36:37], v[36:37], 2.0, v[22:23] op_sel_hi:[1,0,1] neg_lo:[0,0,1] neg_hi:[0,0,1]
	v_pk_mul_f32 v[14:15], v[0:1], s[0:1] op_sel_hi:[1,0]
	v_pk_fma_f32 v[0:1], v[0:1], s[0:1], v[36:37] op_sel_hi:[1,0,1] neg_lo:[1,0,0] neg_hi:[1,0,0]
	v_fmac_f32_e32 v7, 0x3f3504f3, v13
	v_pk_add_f32 v[38:39], v[0:1], v[14:15] op_sel:[0,1] op_sel_hi:[1,0]
	v_pk_add_f32 v[0:1], v[0:1], v[14:15] op_sel:[0,1] op_sel_hi:[1,0] neg_lo:[0,1] neg_hi:[0,1]
	v_mul_f32_e32 v9, v7, v58
	v_mov_b32_e32 v39, v1
	v_mul_f32_e32 v0, v38, v59
	v_fma_f32 v13, v2, v51, -v9
	v_mul_f32_e32 v12, v2, v58
	v_fma_f32 v15, v1, v54, -v0
	v_fma_f32 v0, v29, 2.0, -v2
	v_fma_f32 v2, v22, 2.0, -v7
	v_pk_fma_f32 v[22:23], v[36:37], 2.0, v[38:39] op_sel_hi:[1,0,1] neg_lo:[0,0,1] neg_hi:[0,0,1]
	v_fmac_f32_e32 v12, v7, v51
	v_mul_f32_e32 v14, v1, v59
	v_mul_f32_e32 v1, v2, v60
	v_pk_mul_f32 v[6:7], v[6:7], v[22:23] op_sel_hi:[0,1]
	v_mov_b32_e32 v31, v27
	v_mad_u64_u32 v[24:25], s[2:3], s12, v50, v[10:11]
	v_fma_f32 v1, v0, v53, -v1
	v_mul_f32_e32 v0, v0, v60
	v_pk_fma_f32 v[28:29], v[8:9], v[22:23], v[6:7] op_sel:[0,0,1] op_sel_hi:[1,1,0]
	v_pk_fma_f32 v[6:7], v[8:9], v[22:23], v[6:7] op_sel:[0,0,1] op_sel_hi:[0,1,0] neg_lo:[0,0,1] neg_hi:[0,0,1]
	v_lshl_add_u64 v[30:31], v[30:31], 3, s[4:5]
	v_mov_b32_e32 v33, v27
	v_mov_b32_e32 v25, v27
	v_fmac_f32_e32 v0, v2, v53
	v_mov_b32_e32 v29, v7
	v_lshl_add_u64 v[32:33], v[32:33], 3, s[4:5]
	v_lshl_add_u64 v[24:25], v[24:25], 3, s[4:5]
	global_store_dwordx2 v[30:31], v[28:29], off
	global_store_dwordx2 v[32:33], v[4:5], off
	;; [unrolled: 1-line block ×3, first 2 shown]
	v_or_b32_e32 v0, 0xa0, v17
	v_mad_u64_u32 v[0:1], s[0:1], s12, v0, v[10:11]
	v_mov_b32_e32 v35, v27
	v_mov_b32_e32 v1, v27
	v_lshl_add_u64 v[34:35], v[34:35], 3, s[4:5]
	v_fmac_f32_e32 v14, v38, v54
	v_mov_b32_e32 v43, v3
	v_lshl_add_u64 v[0:1], v[0:1], 3, s[4:5]
	global_store_dwordx2 v[34:35], v[42:43], off
	global_store_dwordx2 v[0:1], v[14:15], off
	v_mad_u64_u32 v[0:1], s[0:1], s12, v21, v[10:11]
	v_mov_b32_e32 v1, v27
	v_lshl_add_u64 v[0:1], v[0:1], 3, s[4:5]
	global_store_dwordx2 v[0:1], v[44:45], off
	v_mad_u64_u32 v[0:1], s[0:1], s12, v19, v[10:11]
	v_mov_b32_e32 v1, v27
	v_lshl_add_u64 v[0:1], v[0:1], 3, s[4:5]
	global_store_dwordx2 v[0:1], v[12:13], off
.LBB0_31:
	s_endpgm
	.section	.rodata,"a",@progbits
	.p2align	6, 0x0
	.amdhsa_kernel fft_rtc_back_len256_factors_8_4_8_wgs_256_tpt_32_sp_ip_CI_sbcc_twdbase5_3step_dirReg_intrinsicReadWrite
		.amdhsa_group_segment_fixed_size 0
		.amdhsa_private_segment_fixed_size 0
		.amdhsa_kernarg_size 96
		.amdhsa_user_sgpr_count 2
		.amdhsa_user_sgpr_dispatch_ptr 0
		.amdhsa_user_sgpr_queue_ptr 0
		.amdhsa_user_sgpr_kernarg_segment_ptr 1
		.amdhsa_user_sgpr_dispatch_id 0
		.amdhsa_user_sgpr_kernarg_preload_length 0
		.amdhsa_user_sgpr_kernarg_preload_offset 0
		.amdhsa_user_sgpr_private_segment_size 0
		.amdhsa_uses_dynamic_stack 0
		.amdhsa_enable_private_segment 0
		.amdhsa_system_sgpr_workgroup_id_x 1
		.amdhsa_system_sgpr_workgroup_id_y 0
		.amdhsa_system_sgpr_workgroup_id_z 0
		.amdhsa_system_sgpr_workgroup_info 0
		.amdhsa_system_vgpr_workitem_id 0
		.amdhsa_next_free_vgpr 63
		.amdhsa_next_free_sgpr 39
		.amdhsa_accum_offset 64
		.amdhsa_reserve_vcc 1
		.amdhsa_float_round_mode_32 0
		.amdhsa_float_round_mode_16_64 0
		.amdhsa_float_denorm_mode_32 3
		.amdhsa_float_denorm_mode_16_64 3
		.amdhsa_dx10_clamp 1
		.amdhsa_ieee_mode 1
		.amdhsa_fp16_overflow 0
		.amdhsa_tg_split 0
		.amdhsa_exception_fp_ieee_invalid_op 0
		.amdhsa_exception_fp_denorm_src 0
		.amdhsa_exception_fp_ieee_div_zero 0
		.amdhsa_exception_fp_ieee_overflow 0
		.amdhsa_exception_fp_ieee_underflow 0
		.amdhsa_exception_fp_ieee_inexact 0
		.amdhsa_exception_int_div_zero 0
	.end_amdhsa_kernel
	.text
.Lfunc_end0:
	.size	fft_rtc_back_len256_factors_8_4_8_wgs_256_tpt_32_sp_ip_CI_sbcc_twdbase5_3step_dirReg_intrinsicReadWrite, .Lfunc_end0-fft_rtc_back_len256_factors_8_4_8_wgs_256_tpt_32_sp_ip_CI_sbcc_twdbase5_3step_dirReg_intrinsicReadWrite
                                        ; -- End function
	.section	.AMDGPU.csdata,"",@progbits
; Kernel info:
; codeLenInByte = 4780
; NumSgprs: 45
; NumVgprs: 63
; NumAgprs: 0
; TotalNumVgprs: 63
; ScratchSize: 0
; MemoryBound: 0
; FloatMode: 240
; IeeeMode: 1
; LDSByteSize: 0 bytes/workgroup (compile time only)
; SGPRBlocks: 5
; VGPRBlocks: 7
; NumSGPRsForWavesPerEU: 45
; NumVGPRsForWavesPerEU: 63
; AccumOffset: 64
; Occupancy: 8
; WaveLimiterHint : 1
; COMPUTE_PGM_RSRC2:SCRATCH_EN: 0
; COMPUTE_PGM_RSRC2:USER_SGPR: 2
; COMPUTE_PGM_RSRC2:TRAP_HANDLER: 0
; COMPUTE_PGM_RSRC2:TGID_X_EN: 1
; COMPUTE_PGM_RSRC2:TGID_Y_EN: 0
; COMPUTE_PGM_RSRC2:TGID_Z_EN: 0
; COMPUTE_PGM_RSRC2:TIDIG_COMP_CNT: 0
; COMPUTE_PGM_RSRC3_GFX90A:ACCUM_OFFSET: 15
; COMPUTE_PGM_RSRC3_GFX90A:TG_SPLIT: 0
	.text
	.p2alignl 6, 3212836864
	.fill 256, 4, 3212836864
	.type	__hip_cuid_9afb45577ac1f664,@object ; @__hip_cuid_9afb45577ac1f664
	.section	.bss,"aw",@nobits
	.globl	__hip_cuid_9afb45577ac1f664
__hip_cuid_9afb45577ac1f664:
	.byte	0                               ; 0x0
	.size	__hip_cuid_9afb45577ac1f664, 1

	.ident	"AMD clang version 19.0.0git (https://github.com/RadeonOpenCompute/llvm-project roc-6.4.0 25133 c7fe45cf4b819c5991fe208aaa96edf142730f1d)"
	.section	".note.GNU-stack","",@progbits
	.addrsig
	.addrsig_sym __hip_cuid_9afb45577ac1f664
	.amdgpu_metadata
---
amdhsa.kernels:
  - .agpr_count:     0
    .args:
      - .actual_access:  read_only
        .address_space:  global
        .offset:         0
        .size:           8
        .value_kind:     global_buffer
      - .address_space:  global
        .offset:         8
        .size:           8
        .value_kind:     global_buffer
      - .offset:         16
        .size:           8
        .value_kind:     by_value
      - .actual_access:  read_only
        .address_space:  global
        .offset:         24
        .size:           8
        .value_kind:     global_buffer
      - .actual_access:  read_only
        .address_space:  global
        .offset:         32
        .size:           8
        .value_kind:     global_buffer
      - .offset:         40
        .size:           8
        .value_kind:     by_value
      - .actual_access:  read_only
        .address_space:  global
        .offset:         48
        .size:           8
        .value_kind:     global_buffer
      - .actual_access:  read_only
        .address_space:  global
        .offset:         56
        .size:           8
        .value_kind:     global_buffer
      - .offset:         64
        .size:           4
        .value_kind:     by_value
      - .actual_access:  read_only
        .address_space:  global
        .offset:         72
        .size:           8
        .value_kind:     global_buffer
      - .actual_access:  read_only
        .address_space:  global
        .offset:         80
        .size:           8
        .value_kind:     global_buffer
      - .address_space:  global
        .offset:         88
        .size:           8
        .value_kind:     global_buffer
    .group_segment_fixed_size: 0
    .kernarg_segment_align: 8
    .kernarg_segment_size: 96
    .language:       OpenCL C
    .language_version:
      - 2
      - 0
    .max_flat_workgroup_size: 256
    .name:           fft_rtc_back_len256_factors_8_4_8_wgs_256_tpt_32_sp_ip_CI_sbcc_twdbase5_3step_dirReg_intrinsicReadWrite
    .private_segment_fixed_size: 0
    .sgpr_count:     45
    .sgpr_spill_count: 0
    .symbol:         fft_rtc_back_len256_factors_8_4_8_wgs_256_tpt_32_sp_ip_CI_sbcc_twdbase5_3step_dirReg_intrinsicReadWrite.kd
    .uniform_work_group_size: 1
    .uses_dynamic_stack: false
    .vgpr_count:     63
    .vgpr_spill_count: 0
    .wavefront_size: 64
amdhsa.target:   amdgcn-amd-amdhsa--gfx950
amdhsa.version:
  - 1
  - 2
...

	.end_amdgpu_metadata
